;; amdgpu-corpus repo=ROCm/rocFFT kind=compiled arch=gfx1201 opt=O3
	.text
	.amdgcn_target "amdgcn-amd-amdhsa--gfx1201"
	.amdhsa_code_object_version 6
	.protected	fft_rtc_fwd_len270_factors_10_3_3_3_wgs_108_tpt_27_halfLds_half_op_CI_CI_unitstride_sbrr_C2R_dirReg ; -- Begin function fft_rtc_fwd_len270_factors_10_3_3_3_wgs_108_tpt_27_halfLds_half_op_CI_CI_unitstride_sbrr_C2R_dirReg
	.globl	fft_rtc_fwd_len270_factors_10_3_3_3_wgs_108_tpt_27_halfLds_half_op_CI_CI_unitstride_sbrr_C2R_dirReg
	.p2align	8
	.type	fft_rtc_fwd_len270_factors_10_3_3_3_wgs_108_tpt_27_halfLds_half_op_CI_CI_unitstride_sbrr_C2R_dirReg,@function
fft_rtc_fwd_len270_factors_10_3_3_3_wgs_108_tpt_27_halfLds_half_op_CI_CI_unitstride_sbrr_C2R_dirReg: ; @fft_rtc_fwd_len270_factors_10_3_3_3_wgs_108_tpt_27_halfLds_half_op_CI_CI_unitstride_sbrr_C2R_dirReg
; %bb.0:
	s_clause 0x2
	s_load_b128 s[8:11], s[0:1], 0x0
	s_load_b128 s[4:7], s[0:1], 0x58
	;; [unrolled: 1-line block ×3, first 2 shown]
	v_mul_u32_u24_e32 v1, 0x97c, v0
	v_mov_b32_e32 v3, 0
	v_mov_b32_e32 v7, 0
	;; [unrolled: 1-line block ×3, first 2 shown]
	s_delay_alu instid0(VALU_DEP_4) | instskip(NEXT) | instid1(VALU_DEP_4)
	v_lshrrev_b32_e32 v11, 16, v1
	v_mov_b32_e32 v10, v3
	s_delay_alu instid0(VALU_DEP_2) | instskip(SKIP_2) | instid1(VALU_DEP_1)
	v_lshl_add_u32 v9, ttmp9, 2, v11
	s_wait_kmcnt 0x0
	v_cmp_lt_u64_e64 s2, s[10:11], 2
	s_and_b32 vcc_lo, exec_lo, s2
	s_cbranch_vccnz .LBB0_8
; %bb.1:
	s_load_b64 s[2:3], s[0:1], 0x10
	v_mov_b32_e32 v7, 0
	v_mov_b32_e32 v8, 0
	s_delay_alu instid0(VALU_DEP_2)
	v_mov_b32_e32 v1, v7
	s_add_nc_u64 s[16:17], s[14:15], 8
	s_add_nc_u64 s[18:19], s[12:13], 8
	s_mov_b64 s[20:21], 1
	v_mov_b32_e32 v2, v8
	s_wait_kmcnt 0x0
	s_add_nc_u64 s[22:23], s[2:3], 8
	s_mov_b32 s3, 0
.LBB0_2:                                ; =>This Inner Loop Header: Depth=1
	s_load_b64 s[24:25], s[22:23], 0x0
                                        ; implicit-def: $vgpr5_vgpr6
	s_mov_b32 s2, exec_lo
	s_wait_kmcnt 0x0
	v_or_b32_e32 v4, s25, v10
	s_delay_alu instid0(VALU_DEP_1)
	v_cmpx_ne_u64_e32 0, v[3:4]
	s_wait_alu 0xfffe
	s_xor_b32 s26, exec_lo, s2
	s_cbranch_execz .LBB0_4
; %bb.3:                                ;   in Loop: Header=BB0_2 Depth=1
	s_cvt_f32_u32 s2, s24
	s_cvt_f32_u32 s27, s25
	s_sub_nc_u64 s[30:31], 0, s[24:25]
	s_wait_alu 0xfffe
	s_delay_alu instid0(SALU_CYCLE_1) | instskip(SKIP_1) | instid1(SALU_CYCLE_2)
	s_fmamk_f32 s2, s27, 0x4f800000, s2
	s_wait_alu 0xfffe
	v_s_rcp_f32 s2, s2
	s_delay_alu instid0(TRANS32_DEP_1) | instskip(SKIP_1) | instid1(SALU_CYCLE_2)
	s_mul_f32 s2, s2, 0x5f7ffffc
	s_wait_alu 0xfffe
	s_mul_f32 s27, s2, 0x2f800000
	s_wait_alu 0xfffe
	s_delay_alu instid0(SALU_CYCLE_2) | instskip(SKIP_1) | instid1(SALU_CYCLE_2)
	s_trunc_f32 s27, s27
	s_wait_alu 0xfffe
	s_fmamk_f32 s2, s27, 0xcf800000, s2
	s_cvt_u32_f32 s29, s27
	s_wait_alu 0xfffe
	s_delay_alu instid0(SALU_CYCLE_1) | instskip(SKIP_1) | instid1(SALU_CYCLE_2)
	s_cvt_u32_f32 s28, s2
	s_wait_alu 0xfffe
	s_mul_u64 s[34:35], s[30:31], s[28:29]
	s_wait_alu 0xfffe
	s_mul_hi_u32 s37, s28, s35
	s_mul_i32 s36, s28, s35
	s_mul_hi_u32 s2, s28, s34
	s_mul_i32 s33, s29, s34
	s_wait_alu 0xfffe
	s_add_nc_u64 s[36:37], s[2:3], s[36:37]
	s_mul_hi_u32 s27, s29, s34
	s_mul_hi_u32 s38, s29, s35
	s_add_co_u32 s2, s36, s33
	s_wait_alu 0xfffe
	s_add_co_ci_u32 s2, s37, s27
	s_mul_i32 s34, s29, s35
	s_add_co_ci_u32 s35, s38, 0
	s_wait_alu 0xfffe
	s_add_nc_u64 s[34:35], s[2:3], s[34:35]
	s_wait_alu 0xfffe
	v_add_co_u32 v4, s2, s28, s34
	s_delay_alu instid0(VALU_DEP_1) | instskip(SKIP_1) | instid1(VALU_DEP_1)
	s_cmp_lg_u32 s2, 0
	s_add_co_ci_u32 s29, s29, s35
	v_readfirstlane_b32 s28, v4
	s_wait_alu 0xfffe
	s_delay_alu instid0(VALU_DEP_1)
	s_mul_u64 s[30:31], s[30:31], s[28:29]
	s_wait_alu 0xfffe
	s_mul_hi_u32 s35, s28, s31
	s_mul_i32 s34, s28, s31
	s_mul_hi_u32 s2, s28, s30
	s_mul_i32 s33, s29, s30
	s_wait_alu 0xfffe
	s_add_nc_u64 s[34:35], s[2:3], s[34:35]
	s_mul_hi_u32 s27, s29, s30
	s_mul_hi_u32 s28, s29, s31
	s_wait_alu 0xfffe
	s_add_co_u32 s2, s34, s33
	s_add_co_ci_u32 s2, s35, s27
	s_mul_i32 s30, s29, s31
	s_add_co_ci_u32 s31, s28, 0
	s_wait_alu 0xfffe
	s_add_nc_u64 s[30:31], s[2:3], s[30:31]
	s_wait_alu 0xfffe
	v_add_co_u32 v6, s2, v4, s30
	s_delay_alu instid0(VALU_DEP_1) | instskip(SKIP_1) | instid1(VALU_DEP_1)
	s_cmp_lg_u32 s2, 0
	s_add_co_ci_u32 s2, s29, s31
	v_mul_hi_u32 v16, v9, v6
	s_wait_alu 0xfffe
	v_mad_co_u64_u32 v[4:5], null, v9, s2, 0
	v_mad_co_u64_u32 v[12:13], null, v10, v6, 0
	;; [unrolled: 1-line block ×3, first 2 shown]
	s_delay_alu instid0(VALU_DEP_3) | instskip(SKIP_1) | instid1(VALU_DEP_4)
	v_add_co_u32 v4, vcc_lo, v16, v4
	s_wait_alu 0xfffd
	v_add_co_ci_u32_e32 v5, vcc_lo, 0, v5, vcc_lo
	s_delay_alu instid0(VALU_DEP_2) | instskip(SKIP_1) | instid1(VALU_DEP_2)
	v_add_co_u32 v4, vcc_lo, v4, v12
	s_wait_alu 0xfffd
	v_add_co_ci_u32_e32 v4, vcc_lo, v5, v13, vcc_lo
	s_wait_alu 0xfffd
	v_add_co_ci_u32_e32 v5, vcc_lo, 0, v15, vcc_lo
	s_delay_alu instid0(VALU_DEP_2) | instskip(SKIP_1) | instid1(VALU_DEP_2)
	v_add_co_u32 v12, vcc_lo, v4, v14
	s_wait_alu 0xfffd
	v_add_co_ci_u32_e32 v6, vcc_lo, 0, v5, vcc_lo
	s_delay_alu instid0(VALU_DEP_2) | instskip(SKIP_1) | instid1(VALU_DEP_3)
	v_mul_lo_u32 v13, s25, v12
	v_mad_co_u64_u32 v[4:5], null, s24, v12, 0
	v_mul_lo_u32 v14, s24, v6
	s_delay_alu instid0(VALU_DEP_2) | instskip(NEXT) | instid1(VALU_DEP_2)
	v_sub_co_u32 v4, vcc_lo, v9, v4
	v_add3_u32 v5, v5, v14, v13
	s_delay_alu instid0(VALU_DEP_1) | instskip(SKIP_1) | instid1(VALU_DEP_1)
	v_sub_nc_u32_e32 v13, v10, v5
	s_wait_alu 0xfffd
	v_subrev_co_ci_u32_e64 v13, s2, s25, v13, vcc_lo
	v_add_co_u32 v14, s2, v12, 2
	s_wait_alu 0xf1ff
	v_add_co_ci_u32_e64 v15, s2, 0, v6, s2
	v_sub_co_u32 v16, s2, v4, s24
	v_sub_co_ci_u32_e32 v5, vcc_lo, v10, v5, vcc_lo
	s_wait_alu 0xf1ff
	v_subrev_co_ci_u32_e64 v13, s2, 0, v13, s2
	s_delay_alu instid0(VALU_DEP_3) | instskip(NEXT) | instid1(VALU_DEP_3)
	v_cmp_le_u32_e32 vcc_lo, s24, v16
	v_cmp_eq_u32_e64 s2, s25, v5
	s_wait_alu 0xfffd
	v_cndmask_b32_e64 v16, 0, -1, vcc_lo
	v_cmp_le_u32_e32 vcc_lo, s25, v13
	s_wait_alu 0xfffd
	v_cndmask_b32_e64 v17, 0, -1, vcc_lo
	v_cmp_le_u32_e32 vcc_lo, s24, v4
	;; [unrolled: 3-line block ×3, first 2 shown]
	s_wait_alu 0xfffd
	v_cndmask_b32_e64 v18, 0, -1, vcc_lo
	v_cmp_eq_u32_e32 vcc_lo, s25, v13
	s_wait_alu 0xf1ff
	s_delay_alu instid0(VALU_DEP_2)
	v_cndmask_b32_e64 v4, v18, v4, s2
	s_wait_alu 0xfffd
	v_cndmask_b32_e32 v13, v17, v16, vcc_lo
	v_add_co_u32 v16, vcc_lo, v12, 1
	s_wait_alu 0xfffd
	v_add_co_ci_u32_e32 v17, vcc_lo, 0, v6, vcc_lo
	s_delay_alu instid0(VALU_DEP_3) | instskip(SKIP_1) | instid1(VALU_DEP_2)
	v_cmp_ne_u32_e32 vcc_lo, 0, v13
	s_wait_alu 0xfffd
	v_cndmask_b32_e32 v5, v17, v15, vcc_lo
	v_cndmask_b32_e32 v13, v16, v14, vcc_lo
	v_cmp_ne_u32_e32 vcc_lo, 0, v4
	s_wait_alu 0xfffd
	s_delay_alu instid0(VALU_DEP_3) | instskip(NEXT) | instid1(VALU_DEP_3)
	v_cndmask_b32_e32 v6, v6, v5, vcc_lo
	v_cndmask_b32_e32 v5, v12, v13, vcc_lo
.LBB0_4:                                ;   in Loop: Header=BB0_2 Depth=1
	s_wait_alu 0xfffe
	s_and_not1_saveexec_b32 s2, s26
	s_cbranch_execz .LBB0_6
; %bb.5:                                ;   in Loop: Header=BB0_2 Depth=1
	v_cvt_f32_u32_e32 v4, s24
	s_sub_co_i32 s26, 0, s24
	s_delay_alu instid0(VALU_DEP_1) | instskip(NEXT) | instid1(TRANS32_DEP_1)
	v_rcp_iflag_f32_e32 v4, v4
	v_mul_f32_e32 v4, 0x4f7ffffe, v4
	s_delay_alu instid0(VALU_DEP_1) | instskip(SKIP_1) | instid1(VALU_DEP_1)
	v_cvt_u32_f32_e32 v4, v4
	s_wait_alu 0xfffe
	v_mul_lo_u32 v5, s26, v4
	s_delay_alu instid0(VALU_DEP_1) | instskip(NEXT) | instid1(VALU_DEP_1)
	v_mul_hi_u32 v5, v4, v5
	v_add_nc_u32_e32 v4, v4, v5
	s_delay_alu instid0(VALU_DEP_1) | instskip(NEXT) | instid1(VALU_DEP_1)
	v_mul_hi_u32 v4, v9, v4
	v_mul_lo_u32 v5, v4, s24
	v_add_nc_u32_e32 v6, 1, v4
	s_delay_alu instid0(VALU_DEP_2) | instskip(NEXT) | instid1(VALU_DEP_1)
	v_sub_nc_u32_e32 v5, v9, v5
	v_subrev_nc_u32_e32 v12, s24, v5
	v_cmp_le_u32_e32 vcc_lo, s24, v5
	s_wait_alu 0xfffd
	s_delay_alu instid0(VALU_DEP_2) | instskip(NEXT) | instid1(VALU_DEP_1)
	v_dual_cndmask_b32 v5, v5, v12 :: v_dual_cndmask_b32 v4, v4, v6
	v_cmp_le_u32_e32 vcc_lo, s24, v5
	s_delay_alu instid0(VALU_DEP_2) | instskip(SKIP_1) | instid1(VALU_DEP_1)
	v_add_nc_u32_e32 v6, 1, v4
	s_wait_alu 0xfffd
	v_dual_cndmask_b32 v5, v4, v6 :: v_dual_mov_b32 v6, v3
.LBB0_6:                                ;   in Loop: Header=BB0_2 Depth=1
	s_wait_alu 0xfffe
	s_or_b32 exec_lo, exec_lo, s2
	s_delay_alu instid0(VALU_DEP_1) | instskip(NEXT) | instid1(VALU_DEP_2)
	v_mul_lo_u32 v4, v6, s24
	v_mul_lo_u32 v14, v5, s25
	s_load_b64 s[26:27], s[18:19], 0x0
	v_mad_co_u64_u32 v[12:13], null, v5, s24, 0
	s_load_b64 s[24:25], s[16:17], 0x0
	s_add_nc_u64 s[20:21], s[20:21], 1
	s_add_nc_u64 s[16:17], s[16:17], 8
	s_wait_alu 0xfffe
	v_cmp_ge_u64_e64 s2, s[20:21], s[10:11]
	s_add_nc_u64 s[18:19], s[18:19], 8
	s_add_nc_u64 s[22:23], s[22:23], 8
	v_add3_u32 v4, v13, v14, v4
	v_sub_co_u32 v9, vcc_lo, v9, v12
	s_wait_alu 0xfffd
	s_delay_alu instid0(VALU_DEP_2) | instskip(SKIP_2) | instid1(VALU_DEP_1)
	v_sub_co_ci_u32_e32 v4, vcc_lo, v10, v4, vcc_lo
	s_and_b32 vcc_lo, exec_lo, s2
	s_wait_kmcnt 0x0
	v_mul_lo_u32 v10, s26, v4
	v_mul_lo_u32 v12, s27, v9
	v_mad_co_u64_u32 v[7:8], null, s26, v9, v[7:8]
	v_mul_lo_u32 v4, s24, v4
	v_mul_lo_u32 v13, s25, v9
	v_mad_co_u64_u32 v[1:2], null, s24, v9, v[1:2]
	s_delay_alu instid0(VALU_DEP_4) | instskip(NEXT) | instid1(VALU_DEP_2)
	v_add3_u32 v8, v12, v8, v10
	v_add3_u32 v2, v13, v2, v4
	s_wait_alu 0xfffe
	s_cbranch_vccnz .LBB0_9
; %bb.7:                                ;   in Loop: Header=BB0_2 Depth=1
	v_dual_mov_b32 v10, v6 :: v_dual_mov_b32 v9, v5
	s_branch .LBB0_2
.LBB0_8:
	v_dual_mov_b32 v1, v7 :: v_dual_mov_b32 v2, v8
	v_dual_mov_b32 v5, v9 :: v_dual_mov_b32 v6, v10
.LBB0_9:
	s_load_b64 s[0:1], s[0:1], 0x28
	v_mul_hi_u32 v9, 0x97b425f, v0
	v_and_b32_e32 v4, 3, v11
	s_lshl_b64 s[10:11], s[10:11], 3
                                        ; implicit-def: $vgpr3
	s_wait_alu 0xfffe
	s_add_nc_u64 s[2:3], s[14:15], s[10:11]
	s_wait_kmcnt 0x0
	v_cmp_gt_u64_e32 vcc_lo, s[0:1], v[5:6]
	v_cmp_le_u64_e64 s0, s[0:1], v[5:6]
	s_delay_alu instid0(VALU_DEP_1)
	s_and_saveexec_b32 s1, s0
	s_wait_alu 0xfffe
	s_xor_b32 s0, exec_lo, s1
; %bb.10:
	v_mul_u32_u24_e32 v3, 27, v9
                                        ; implicit-def: $vgpr9
                                        ; implicit-def: $vgpr7_vgpr8
	s_delay_alu instid0(VALU_DEP_1)
	v_sub_nc_u32_e32 v3, v0, v3
                                        ; implicit-def: $vgpr0
; %bb.11:
	s_wait_alu 0xfffe
	s_or_saveexec_b32 s1, s0
	s_load_b64 s[2:3], s[2:3], 0x0
	v_mul_u32_u24_e32 v4, 0x10f, v4
	s_delay_alu instid0(VALU_DEP_1)
	v_lshlrev_b32_e32 v20, 2, v4
	s_xor_b32 exec_lo, exec_lo, s1
	s_cbranch_execz .LBB0_15
; %bb.12:
	s_add_nc_u64 s[10:11], s[12:13], s[10:11]
	v_lshlrev_b64_e32 v[7:8], 2, v[7:8]
	s_load_b64 s[10:11], s[10:11], 0x0
	s_wait_kmcnt 0x0
	v_mul_lo_u32 v3, s11, v5
	v_mul_lo_u32 v12, s10, v6
	v_mad_co_u64_u32 v[10:11], null, s10, v5, 0
	s_delay_alu instid0(VALU_DEP_1) | instskip(SKIP_1) | instid1(VALU_DEP_2)
	v_add3_u32 v11, v11, v12, v3
	v_mul_u32_u24_e32 v3, 27, v9
	v_lshlrev_b64_e32 v[9:10], 2, v[10:11]
	s_delay_alu instid0(VALU_DEP_2) | instskip(NEXT) | instid1(VALU_DEP_1)
	v_sub_nc_u32_e32 v3, v0, v3
	v_lshlrev_b32_e32 v11, 2, v3
	s_delay_alu instid0(VALU_DEP_3) | instskip(SKIP_1) | instid1(VALU_DEP_4)
	v_add_co_u32 v0, s0, s4, v9
	s_wait_alu 0xf1ff
	v_add_co_ci_u32_e64 v9, s0, s5, v10, s0
	s_mov_b32 s4, exec_lo
	s_delay_alu instid0(VALU_DEP_2) | instskip(SKIP_1) | instid1(VALU_DEP_2)
	v_add_co_u32 v7, s0, v0, v7
	s_wait_alu 0xf1ff
	v_add_co_ci_u32_e64 v8, s0, v9, v8, s0
	v_add3_u32 v0, 0, v20, v11
	s_delay_alu instid0(VALU_DEP_3) | instskip(SKIP_1) | instid1(VALU_DEP_3)
	v_add_co_u32 v9, s0, v7, v11
	s_wait_alu 0xf1ff
	v_add_co_ci_u32_e64 v10, s0, 0, v8, s0
	s_clause 0x9
	global_load_b32 v12, v[9:10], off
	global_load_b32 v13, v[9:10], off offset:108
	global_load_b32 v14, v[9:10], off offset:216
	;; [unrolled: 1-line block ×9, first 2 shown]
	s_wait_loadcnt 0x8
	ds_store_2addr_b32 v0, v12, v13 offset1:27
	s_wait_loadcnt 0x6
	ds_store_2addr_b32 v0, v14, v15 offset0:54 offset1:81
	s_wait_loadcnt 0x4
	ds_store_2addr_b32 v0, v16, v17 offset0:108 offset1:135
	;; [unrolled: 2-line block ×4, first 2 shown]
	v_cmpx_eq_u32_e32 26, v3
	s_cbranch_execz .LBB0_14
; %bb.13:
	global_load_b32 v7, v[7:8], off offset:1080
	v_mov_b32_e32 v3, 26
	s_wait_loadcnt 0x0
	ds_store_b32 v0, v7 offset:976
.LBB0_14:
	s_wait_alu 0xfffe
	s_or_b32 exec_lo, exec_lo, s4
.LBB0_15:
	s_delay_alu instid0(SALU_CYCLE_1)
	s_or_b32 exec_lo, exec_lo, s1
	v_lshl_add_u32 v0, v4, 2, 0
	v_lshlrev_b32_e32 v4, 2, v3
	global_wb scope:SCOPE_SE
	s_wait_dscnt 0x0
	s_wait_kmcnt 0x0
	s_barrier_signal -1
	s_barrier_wait -1
	global_inv scope:SCOPE_SE
	v_add_nc_u32_e32 v21, v0, v4
	v_sub_nc_u32_e32 v9, v0, v4
	s_mov_b32 s1, exec_lo
	ds_load_u16 v4, v21
	ds_load_u16 v7, v9 offset:1080
	s_wait_dscnt 0x0
	v_add_f16_e32 v11, v7, v4
	v_sub_f16_e32 v10, v4, v7
                                        ; implicit-def: $vgpr7_vgpr8
	v_cmpx_ne_u32_e32 0, v3
	s_wait_alu 0xfffe
	s_xor_b32 s1, exec_lo, s1
	s_cbranch_execz .LBB0_17
; %bb.16:
	v_mov_b32_e32 v4, 0
	s_delay_alu instid0(VALU_DEP_1) | instskip(NEXT) | instid1(VALU_DEP_1)
	v_lshlrev_b64_e32 v[7:8], 2, v[3:4]
	v_add_co_u32 v7, s0, s8, v7
	s_wait_alu 0xf1ff
	s_delay_alu instid0(VALU_DEP_2)
	v_add_co_ci_u32_e64 v8, s0, s9, v8, s0
	global_load_b32 v7, v[7:8], off offset:1040
	ds_load_u16 v8, v9 offset:1082
	ds_load_u16 v12, v21 offset:2
	s_wait_dscnt 0x0
	v_add_f16_e32 v13, v8, v12
	v_sub_f16_e32 v8, v12, v8
	s_wait_loadcnt 0x0
	v_lshrrev_b32_e32 v14, 16, v7
	s_delay_alu instid0(VALU_DEP_1) | instskip(NEXT) | instid1(VALU_DEP_3)
	v_fma_f16 v12, v10, v14, v11
	v_fma_f16 v15, v13, v14, v8
	v_fma_f16 v11, -v10, v14, v11
	v_fma_f16 v8, v13, v14, -v8
	s_delay_alu instid0(VALU_DEP_4) | instskip(NEXT) | instid1(VALU_DEP_4)
	v_fma_f16 v12, -v7, v13, v12
	v_fmac_f16_e32 v15, v10, v7
	s_delay_alu instid0(VALU_DEP_4) | instskip(NEXT) | instid1(VALU_DEP_4)
	v_fmac_f16_e32 v11, v7, v13
	v_fmac_f16_e32 v8, v10, v7
	s_delay_alu instid0(VALU_DEP_3) | instskip(NEXT) | instid1(VALU_DEP_2)
	v_pack_b32_f16 v10, v12, v15
	v_pack_b32_f16 v11, v11, v8
	v_dual_mov_b32 v8, v4 :: v_dual_mov_b32 v7, v3
	ds_store_b32 v21, v10
	ds_store_b32 v9, v11 offset:1080
                                        ; implicit-def: $vgpr11
                                        ; implicit-def: $vgpr10
.LBB0_17:
	s_wait_alu 0xfffe
	s_and_not1_saveexec_b32 s0, s1
	s_cbranch_execz .LBB0_19
; %bb.18:
	v_pack_b32_f16 v4, v11, v10
	v_mov_b32_e32 v7, 0
	v_mov_b32_e32 v8, 0
	ds_store_b32 v21, v4
	ds_load_b32 v4, v0 offset:540
	s_wait_dscnt 0x0
	v_pk_mul_f16 v4, 0xc0004000, v4
	ds_store_b32 v0, v4 offset:540
.LBB0_19:
	s_wait_alu 0xfffe
	s_or_b32 exec_lo, exec_lo, s0
	v_lshlrev_b64_e32 v[7:8], 2, v[7:8]
	s_add_nc_u64 s[0:1], s[8:9], 0x410
	s_wait_alu 0xfffe
	s_delay_alu instid0(VALU_DEP_1) | instskip(SKIP_1) | instid1(VALU_DEP_2)
	v_add_co_u32 v7, s0, s0, v7
	s_wait_alu 0xf1ff
	v_add_co_ci_u32_e64 v8, s0, s1, v8, s0
	v_cmp_gt_u32_e64 s0, 9, v3
	s_clause 0x3
	global_load_b32 v4, v[7:8], off offset:108
	global_load_b32 v10, v[7:8], off offset:216
	;; [unrolled: 1-line block ×4, first 2 shown]
	ds_load_b32 v8, v21 offset:108
	ds_load_b32 v12, v9 offset:972
	s_wait_dscnt 0x1
	v_lshrrev_b32_e32 v13, 16, v8
	s_wait_dscnt 0x0
	v_lshrrev_b32_e32 v14, 16, v12
	v_add_f16_e32 v15, v8, v12
	v_sub_f16_e32 v8, v8, v12
	s_delay_alu instid0(VALU_DEP_3) | instskip(SKIP_3) | instid1(VALU_DEP_1)
	v_add_f16_e32 v12, v14, v13
	v_sub_f16_e32 v13, v13, v14
	s_wait_loadcnt 0x3
	v_lshrrev_b32_e32 v16, 16, v4
	v_fma_f16 v14, v8, v16, v15
	s_delay_alu instid0(VALU_DEP_3) | instskip(SKIP_2) | instid1(VALU_DEP_4)
	v_fma_f16 v17, v12, v16, v13
	v_fma_f16 v15, -v8, v16, v15
	v_fma_f16 v13, v12, v16, -v13
	v_fma_f16 v14, -v4, v12, v14
	s_delay_alu instid0(VALU_DEP_4) | instskip(NEXT) | instid1(VALU_DEP_4)
	v_fmac_f16_e32 v17, v8, v4
	v_fmac_f16_e32 v15, v4, v12
	s_delay_alu instid0(VALU_DEP_4) | instskip(NEXT) | instid1(VALU_DEP_3)
	v_fmac_f16_e32 v13, v8, v4
	v_pack_b32_f16 v4, v14, v17
	s_wait_loadcnt 0x2
	v_lshrrev_b32_e32 v14, 16, v10
	s_delay_alu instid0(VALU_DEP_3)
	v_pack_b32_f16 v8, v15, v13
	ds_store_b32 v21, v4 offset:108
	ds_store_b32 v9, v8 offset:972
	ds_load_b32 v4, v21 offset:216
	ds_load_b32 v8, v9 offset:864
	s_wait_dscnt 0x1
	v_lshrrev_b32_e32 v12, 16, v4
	s_wait_dscnt 0x0
	v_lshrrev_b32_e32 v13, 16, v8
	v_add_f16_e32 v15, v4, v8
	v_sub_f16_e32 v4, v4, v8
	s_delay_alu instid0(VALU_DEP_3) | instskip(SKIP_1) | instid1(VALU_DEP_3)
	v_add_f16_e32 v8, v13, v12
	v_sub_f16_e32 v12, v12, v13
	v_fma_f16 v13, v4, v14, v15
	v_fma_f16 v15, -v4, v14, v15
	s_delay_alu instid0(VALU_DEP_3) | instskip(SKIP_1) | instid1(VALU_DEP_4)
	v_fma_f16 v16, v8, v14, v12
	v_fma_f16 v12, v8, v14, -v12
	v_fma_f16 v13, -v10, v8, v13
	s_delay_alu instid0(VALU_DEP_4) | instskip(NEXT) | instid1(VALU_DEP_4)
	v_fmac_f16_e32 v15, v10, v8
	v_fmac_f16_e32 v16, v4, v10
	s_delay_alu instid0(VALU_DEP_4) | instskip(NEXT) | instid1(VALU_DEP_2)
	v_fmac_f16_e32 v12, v4, v10
	v_pack_b32_f16 v4, v13, v16
	s_delay_alu instid0(VALU_DEP_2)
	v_pack_b32_f16 v8, v15, v12
	ds_store_b32 v21, v4 offset:216
	ds_store_b32 v9, v8 offset:864
	ds_load_b32 v4, v21 offset:324
	ds_load_b32 v8, v9 offset:756
	s_wait_loadcnt 0x1
	v_lshrrev_b32_e32 v13, 16, v11
	s_wait_dscnt 0x1
	v_lshrrev_b32_e32 v10, 16, v4
	s_wait_dscnt 0x0
	v_lshrrev_b32_e32 v12, 16, v8
	v_add_f16_e32 v14, v4, v8
	v_sub_f16_e32 v4, v4, v8
	s_delay_alu instid0(VALU_DEP_3) | instskip(SKIP_1) | instid1(VALU_DEP_3)
	v_add_f16_e32 v8, v12, v10
	v_sub_f16_e32 v10, v10, v12
	v_fma_f16 v12, v4, v13, v14
	v_fma_f16 v14, -v4, v13, v14
	s_delay_alu instid0(VALU_DEP_3) | instskip(SKIP_1) | instid1(VALU_DEP_4)
	v_fma_f16 v15, v8, v13, v10
	v_fma_f16 v10, v8, v13, -v10
	v_fma_f16 v12, -v11, v8, v12
	s_delay_alu instid0(VALU_DEP_4) | instskip(NEXT) | instid1(VALU_DEP_4)
	v_fmac_f16_e32 v14, v11, v8
	v_fmac_f16_e32 v15, v4, v11
	s_delay_alu instid0(VALU_DEP_4) | instskip(NEXT) | instid1(VALU_DEP_2)
	v_fmac_f16_e32 v10, v4, v11
	v_pack_b32_f16 v4, v12, v15
	s_delay_alu instid0(VALU_DEP_2)
	v_pack_b32_f16 v8, v14, v10
	ds_store_b32 v21, v4 offset:324
	ds_store_b32 v9, v8 offset:756
	ds_load_b32 v4, v21 offset:432
	ds_load_b32 v8, v9 offset:648
	s_wait_loadcnt 0x0
	v_lshrrev_b32_e32 v12, 16, v7
	v_lshl_add_u32 v15, v3, 2, 0
	s_delay_alu instid0(VALU_DEP_1) | instskip(NEXT) | instid1(VALU_DEP_1)
	v_mad_u32_u24 v22, v3, 36, v15
	v_add_nc_u32_e32 v16, v22, v20
	s_wait_dscnt 0x1
	v_lshrrev_b32_e32 v10, 16, v4
	s_wait_dscnt 0x0
	v_lshrrev_b32_e32 v11, 16, v8
	v_add_f16_e32 v13, v4, v8
	v_sub_f16_e32 v4, v4, v8
	s_delay_alu instid0(VALU_DEP_3) | instskip(SKIP_1) | instid1(VALU_DEP_3)
	v_add_f16_e32 v8, v11, v10
	v_sub_f16_e32 v10, v10, v11
	v_fma_f16 v11, v4, v12, v13
	v_fma_f16 v13, -v4, v12, v13
	s_delay_alu instid0(VALU_DEP_3) | instskip(SKIP_1) | instid1(VALU_DEP_4)
	v_fma_f16 v14, v8, v12, v10
	v_fma_f16 v10, v8, v12, -v10
	v_fma_f16 v11, -v7, v8, v11
	s_delay_alu instid0(VALU_DEP_4) | instskip(NEXT) | instid1(VALU_DEP_4)
	v_fmac_f16_e32 v13, v7, v8
	v_fmac_f16_e32 v14, v4, v7
	s_delay_alu instid0(VALU_DEP_4) | instskip(SKIP_1) | instid1(VALU_DEP_3)
	v_fmac_f16_e32 v10, v4, v7
	v_add_nc_u32_e32 v4, v15, v20
	v_pack_b32_f16 v7, v11, v14
	s_delay_alu instid0(VALU_DEP_3)
	v_pack_b32_f16 v8, v13, v10
	ds_store_b32 v21, v7 offset:432
	ds_store_b32 v9, v8 offset:648
	global_wb scope:SCOPE_SE
	s_wait_dscnt 0x0
	s_barrier_signal -1
	s_barrier_wait -1
	global_inv scope:SCOPE_SE
	global_wb scope:SCOPE_SE
	s_barrier_signal -1
	s_barrier_wait -1
	global_inv scope:SCOPE_SE
	ds_load_2addr_b32 v[7:8], v4 offset0:81 offset1:108
	ds_load_2addr_b32 v[9:10], v4 offset0:135 offset1:162
	;; [unrolled: 1-line block ×4, first 2 shown]
	ds_load_b32 v15, v21
	ds_load_b32 v17, v4 offset:972
	global_wb scope:SCOPE_SE
	s_wait_dscnt 0x0
	s_barrier_signal -1
	s_barrier_wait -1
	global_inv scope:SCOPE_SE
	v_lshrrev_b32_e32 v24, 16, v8
	v_add_f16_e32 v18, v8, v10
	v_lshrrev_b32_e32 v19, 16, v12
	v_lshrrev_b32_e32 v23, 16, v14
	;; [unrolled: 1-line block ×3, first 2 shown]
	v_sub_f16_e32 v26, v14, v10
	v_sub_f16_e32 v27, v12, v8
	v_add_f16_e32 v28, v12, v14
	v_sub_f16_e32 v29, v10, v14
	v_sub_f16_e32 v30, v8, v12
	v_pk_add_f16 v31, v15, v12
	v_add_f16_e32 v34, v9, v13
	v_lshrrev_b32_e32 v35, 16, v7
	v_lshrrev_b32_e32 v36, 16, v17
	;; [unrolled: 1-line block ×4, first 2 shown]
	v_add_f16_e32 v41, v7, v17
	v_pk_add_f16 v44, v11, v7
	v_lshrrev_b32_e32 v32, 16, v15
	v_sub_f16_e32 v33, v8, v10
	v_sub_f16_e32 v40, v7, v9
	;; [unrolled: 1-line block ×3, first 2 shown]
	v_lshrrev_b32_e32 v45, 16, v11
	v_sub_f16_e32 v46, v9, v13
	v_fma_f16 v18, -0.5, v18, v15
	v_sub_f16_e32 v47, v19, v23
	v_sub_f16_e32 v48, v24, v25
	v_add_f16_e32 v26, v27, v26
	v_fma_f16 v15, -0.5, v28, v15
	v_add_f16_e32 v27, v30, v29
	v_pk_add_f16 v8, v31, v8
	v_add_f16_e32 v28, v24, v25
	v_sub_f16_e32 v29, v19, v24
	v_sub_f16_e32 v30, v23, v25
	v_add_f16_e32 v31, v19, v23
	v_sub_f16_e32 v19, v24, v19
	v_sub_f16_e32 v23, v25, v23
	v_fma_f16 v24, -0.5, v34, v11
	v_sub_f16_e32 v25, v35, v36
	v_sub_f16_e32 v34, v37, v38
	v_fma_f16 v11, -0.5, v41, v11
	v_pk_add_f16 v9, v44, v9
	v_add_f16_e32 v41, v37, v38
	v_add_f16_e32 v44, v35, v36
	v_sub_f16_e32 v39, v17, v13
	v_sub_f16_e32 v42, v13, v17
	v_sub_f16_e32 v7, v7, v17
	v_pk_add_f16 v8, v8, v10
	v_fma_f16 v10, -0.5, v28, v32
	v_add_f16_e32 v28, v29, v30
	v_add_f16_e32 v19, v19, v23
	v_fmamk_f16 v23, v25, 0x3b9c, v24
	v_fmamk_f16 v29, v34, 0xbb9c, v11
	v_fmac_f16_e32 v11, 0x3b9c, v34
	v_pk_add_f16 v9, v9, v13
	v_fma_f16 v13, -0.5, v41, v45
	v_fmac_f16_e32 v45, -0.5, v44
	v_add_f16_e32 v39, v40, v39
	v_add_f16_e32 v40, v43, v42
	v_sub_f16_e32 v42, v35, v37
	v_sub_f16_e32 v43, v36, v38
	;; [unrolled: 1-line block ×4, first 2 shown]
	v_fmac_f16_e32 v32, -0.5, v31
	v_fmac_f16_e32 v24, 0xbb9c, v25
	v_fmac_f16_e32 v23, 0x38b4, v34
	;; [unrolled: 1-line block ×4, first 2 shown]
	v_pk_add_f16 v9, v9, v17
	v_fmamk_f16 v17, v7, 0xbb9c, v13
	v_fmamk_f16 v25, v46, 0x3b9c, v45
	v_fmac_f16_e32 v45, 0xbb9c, v46
	v_sub_f16_e32 v12, v12, v14
	v_add_f16_e32 v31, v35, v36
	v_fmamk_f16 v35, v33, 0x3b9c, v32
	v_fmac_f16_e32 v32, 0xbb9c, v33
	v_fmac_f16_e32 v24, 0xb8b4, v34
	;; [unrolled: 1-line block ×3, first 2 shown]
	v_fmamk_f16 v37, v47, 0x3b9c, v18
	v_fmac_f16_e32 v18, 0xbb9c, v47
	v_fmamk_f16 v38, v48, 0xbb9c, v15
	v_fmac_f16_e32 v15, 0x3b9c, v48
	v_add_f16_e32 v30, v42, v43
	v_pk_add_f16 v8, v8, v14
	v_fmac_f16_e32 v23, 0x34f2, v39
	v_fmac_f16_e32 v17, 0xb8b4, v46
	;; [unrolled: 1-line block ×8, first 2 shown]
	v_fmamk_f16 v14, v12, 0xbb9c, v10
	v_fmac_f16_e32 v37, 0x38b4, v48
	v_fmac_f16_e32 v18, 0xb8b4, v48
	;; [unrolled: 1-line block ×6, first 2 shown]
	v_pk_add_f16 v7, v8, v9
	v_pk_add_f16 v8, v8, v9 neg_lo:[0,1] neg_hi:[0,1]
	v_fmac_f16_e32 v17, 0x34f2, v30
	v_fmac_f16_e32 v25, 0x34f2, v31
	;; [unrolled: 1-line block ×3, first 2 shown]
	v_mul_f16_e32 v9, 0x3a79, v23
	v_mul_f16_e32 v23, 0xb8b4, v23
	v_fmac_f16_e32 v10, 0x3b9c, v12
	v_fmac_f16_e32 v35, 0x34f2, v19
	v_fmac_f16_e32 v32, 0x34f2, v19
	v_fmac_f16_e32 v13, 0x34f2, v30
	v_mul_f16_e32 v19, 0x3a79, v24
	v_fmac_f16_e32 v14, 0xb8b4, v33
	v_fmac_f16_e32 v37, 0x34f2, v26
	;; [unrolled: 1-line block ×5, first 2 shown]
	v_mul_f16_e32 v12, 0x34f2, v11
	v_mul_f16_e32 v26, 0xbb9c, v29
	v_fmac_f16_e32 v9, 0x38b4, v17
	v_mul_f16_e32 v27, 0x3b9c, v25
	v_fmac_f16_e32 v23, 0x3a79, v17
	;; [unrolled: 2-line block ×3, first 2 shown]
	v_fma_f16 v19, v13, 0x38b4, -v19
	v_mul_f16_e32 v13, 0x3a79, v13
	v_fmac_f16_e32 v14, 0x34f2, v28
	v_fma_f16 v12, v45, 0x3b9c, -v12
	v_fmac_f16_e32 v26, 0x34f2, v25
	v_fmac_f16_e32 v27, 0x34f2, v29
	v_fma_f16 v11, v11, 0xbb9c, -v17
	v_fmac_f16_e32 v10, 0x34f2, v28
	v_fma_f16 v13, v24, 0xb8b4, -v13
	v_add_f16_e32 v25, v37, v9
	v_add_f16_e32 v30, v14, v23
	;; [unrolled: 1-line block ×5, first 2 shown]
	v_sub_f16_e32 v17, v37, v9
	v_sub_f16_e32 v9, v18, v19
	;; [unrolled: 1-line block ×3, first 2 shown]
	v_add_f16_e32 v18, v38, v27
	v_add_f16_e32 v19, v32, v11
	;; [unrolled: 1-line block ×3, first 2 shown]
	v_sub_f16_e32 v12, v15, v12
	v_sub_f16_e32 v15, v35, v26
	;; [unrolled: 1-line block ×5, first 2 shown]
	v_pack_b32_f16 v10, v25, v30
	v_pack_b32_f16 v13, v17, v14
	;; [unrolled: 1-line block ×8, first 2 shown]
	ds_store_2addr_b32 v16, v7, v10 offset1:1
	ds_store_2addr_b32 v16, v17, v14 offset0:2 offset1:3
	ds_store_2addr_b32 v16, v18, v8 offset0:4 offset1:5
	;; [unrolled: 1-line block ×4, first 2 shown]
	global_wb scope:SCOPE_SE
	s_wait_dscnt 0x0
	s_barrier_signal -1
	s_barrier_wait -1
	global_inv scope:SCOPE_SE
	ds_load_b32 v17, v21
	ds_load_2addr_b32 v[15:16], v4 offset0:90 offset1:117
	ds_load_2addr_b32 v[7:8], v4 offset0:144 offset1:180
	;; [unrolled: 1-line block ×4, first 2 shown]
                                        ; implicit-def: $vgpr19
                                        ; implicit-def: $vgpr18
                                        ; implicit-def: $vgpr26
	s_and_saveexec_b32 s1, s0
	s_cbranch_execz .LBB0_21
; %bb.20:
	ds_load_2addr_b32 v[9:10], v4 offset0:81 offset1:171
	ds_load_b32 v18, v4 offset:1044
	s_wait_dscnt 0x1
	v_lshrrev_b32_e32 v27, 16, v9
	s_wait_dscnt 0x0
	v_lshrrev_b32_e32 v19, 16, v18
	v_lshrrev_b32_e32 v26, 16, v10
.LBB0_21:
	s_wait_alu 0xfffe
	s_or_b32 exec_lo, exec_lo, s1
	v_and_b32_e32 v23, 0xff, v3
	v_add_nc_u32_e32 v25, 27, v3
	v_add_nc_u32_e32 v24, 54, v3
	s_wait_dscnt 0x3
	v_lshrrev_b32_e32 v48, 16, v15
	s_wait_dscnt 0x2
	v_lshrrev_b32_e32 v49, 16, v8
	v_mul_lo_u16 v28, 0xcd, v23
	v_add_nc_u32_e32 v23, 0x51, v3
	v_and_b32_e32 v30, 0xff, v25
	v_lshrrev_b32_e32 v50, 16, v16
	s_wait_dscnt 0x0
	v_lshrrev_b32_e32 v51, 16, v13
	v_lshrrev_b16 v39, 11, v28
	v_and_b32_e32 v28, 0xff, v24
	v_and_b32_e32 v29, 0xff, v23
	v_mul_lo_u16 v30, 0xcd, v30
	v_lshrrev_b32_e32 v52, 16, v7
	v_mul_lo_u16 v31, v39, 10
	v_mul_lo_u16 v32, 0xcd, v28
	;; [unrolled: 1-line block ×3, first 2 shown]
	v_lshrrev_b16 v40, 11, v30
	v_and_b32_e32 v39, 0xffff, v39
	v_sub_nc_u16 v30, v3, v31
	v_lshrrev_b16 v41, 11, v32
	v_lshrrev_b16 v31, 11, v33
	v_mul_lo_u16 v32, v40, 10
	v_mad_u32_u24 v39, 0x78, v39, 0
	v_and_b32_e32 v42, 0xff, v30
	v_mul_lo_u16 v30, v41, 10
	v_mul_lo_u16 v31, v31, 10
	v_sub_nc_u16 v32, v25, v32
	v_and_b32_e32 v40, 0xffff, v40
	v_lshlrev_b32_e32 v33, 3, v42
	v_sub_nc_u16 v30, v24, v30
	v_sub_nc_u16 v34, v23, v31
	v_and_b32_e32 v43, 0xff, v32
	v_and_b32_e32 v41, 0xffff, v41
	global_load_b64 v[31:32], v33, s[8:9]
	v_and_b32_e32 v44, 0xff, v30
	v_and_b32_e32 v30, 0xff, v34
	v_lshlrev_b32_e32 v33, 3, v43
	v_lshlrev_b32_e32 v42, 2, v42
	v_mad_u32_u24 v40, 0x78, v40, 0
	v_lshlrev_b32_e32 v35, 3, v44
	v_lshlrev_b32_e32 v37, 3, v30
	v_mad_u32_u24 v41, 0x78, v41, 0
	s_clause 0x2
	global_load_b64 v[33:34], v33, s[8:9]
	global_load_b64 v[35:36], v35, s[8:9]
	;; [unrolled: 1-line block ×3, first 2 shown]
	v_add3_u32 v39, v39, v42, v20
	v_lshlrev_b32_e32 v42, 2, v43
	v_lshlrev_b32_e32 v43, 2, v44
	v_lshrrev_b32_e32 v53, 16, v14
	v_lshrrev_b32_e32 v45, 16, v17
	;; [unrolled: 1-line block ×3, first 2 shown]
	v_add3_u32 v40, v40, v42, v20
	v_add3_u32 v41, v41, v43, v20
	v_lshrrev_b32_e32 v47, 16, v12
	global_wb scope:SCOPE_SE
	s_wait_loadcnt 0x0
	s_barrier_signal -1
	s_barrier_wait -1
	global_inv scope:SCOPE_SE
	v_lshrrev_b32_e32 v44, 16, v31
	v_lshrrev_b32_e32 v54, 16, v32
	s_delay_alu instid0(VALU_DEP_2) | instskip(SKIP_1) | instid1(VALU_DEP_3)
	v_mul_f16_e32 v42, v44, v48
	v_mul_f16_e32 v43, v44, v15
	;; [unrolled: 1-line block ×4, first 2 shown]
	v_lshrrev_b32_e32 v55, 16, v33
	v_lshrrev_b32_e32 v56, 16, v34
	v_lshrrev_b32_e32 v57, 16, v35
	v_lshrrev_b32_e32 v58, 16, v36
	v_lshrrev_b32_e32 v59, 16, v37
	v_lshrrev_b32_e32 v60, 16, v38
	v_fma_f16 v15, v31, v15, -v42
	v_fmac_f16_e32 v43, v31, v48
	v_fma_f16 v8, v32, v8, -v44
	v_fmac_f16_e32 v54, v32, v49
	v_mul_f16_e32 v31, v55, v50
	v_mul_f16_e32 v32, v55, v16
	;; [unrolled: 1-line block ×12, first 2 shown]
	v_fma_f16 v16, v33, v16, -v31
	v_fmac_f16_e32 v32, v33, v50
	v_fma_f16 v13, v34, v13, -v42
	v_fmac_f16_e32 v44, v34, v51
	v_fmac_f16_e32 v60, v19, v38
	v_add_f16_e32 v19, v17, v15
	v_add_f16_e32 v33, v45, v43
	;; [unrolled: 1-line block ×3, first 2 shown]
	v_fma_f16 v7, v35, v7, -v48
	v_fmac_f16_e32 v49, v35, v52
	v_fma_f16 v14, v36, v14, -v55
	v_fmac_f16_e32 v56, v36, v53
	;; [unrolled: 2-line block ×3, first 2 shown]
	v_fma_f16 v18, v18, v38, -v59
	v_add_f16_e32 v26, v15, v8
	v_sub_f16_e32 v15, v15, v8
	v_add_f16_e32 v8, v19, v8
	v_add_f16_e32 v19, v33, v54
	v_fmac_f16_e32 v45, -0.5, v34
	v_add_f16_e32 v33, v16, v13
	v_sub_f16_e32 v34, v32, v44
	v_add_f16_e32 v35, v46, v32
	v_add_f16_e32 v32, v32, v44
	v_sub_f16_e32 v31, v43, v54
	v_add_f16_e32 v37, v7, v14
	v_add_f16_e32 v43, v49, v56
	v_fmac_f16_e32 v17, -0.5, v26
	v_sub_f16_e32 v38, v49, v56
	v_add_f16_e32 v42, v47, v49
	v_add_f16_e32 v49, v10, v18
	v_add_f16_e32 v52, v58, v60
	v_add_f16_e32 v26, v11, v16
	v_sub_f16_e32 v16, v16, v13
	v_add_f16_e32 v36, v12, v7
	v_sub_f16_e32 v48, v7, v14
	v_add_f16_e32 v7, v9, v10
	v_fma_f16 v11, -0.5, v33, v11
	v_fmac_f16_e32 v46, -0.5, v32
	v_fmac_f16_e32 v12, -0.5, v37
	;; [unrolled: 1-line block ×3, first 2 shown]
	v_sub_f16_e32 v50, v58, v60
	v_add_f16_e32 v51, v27, v58
	v_sub_f16_e32 v10, v10, v18
	v_fmamk_f16 v53, v31, 0x3aee, v17
	v_fmac_f16_e32 v17, 0xbaee, v31
	v_fmamk_f16 v54, v15, 0xbaee, v45
	v_fmac_f16_e32 v45, 0x3aee, v15
	v_fmac_f16_e32 v9, -0.5, v49
	v_fmac_f16_e32 v27, -0.5, v52
	v_add_f16_e32 v13, v26, v13
	v_add_f16_e32 v15, v35, v44
	;; [unrolled: 1-line block ×3, first 2 shown]
	v_pack_b32_f16 v18, v8, v19
	v_fmamk_f16 v19, v34, 0x3aee, v11
	v_fmamk_f16 v33, v16, 0xbaee, v46
	v_fmac_f16_e32 v11, 0xbaee, v34
	v_fmac_f16_e32 v46, 0x3aee, v16
	v_add_f16_e32 v14, v36, v14
	v_add_f16_e32 v32, v42, v56
	v_fmamk_f16 v16, v38, 0x3aee, v12
	v_fmamk_f16 v34, v48, 0xbaee, v47
	v_fmac_f16_e32 v12, 0xbaee, v38
	v_fmac_f16_e32 v47, 0x3aee, v48
	v_add_f16_e32 v26, v51, v60
	v_fmamk_f16 v8, v50, 0x3aee, v9
	v_fmac_f16_e32 v9, 0xbaee, v50
	v_fmamk_f16 v31, v10, 0xbaee, v27
	v_pack_b32_f16 v35, v53, v54
	v_fmac_f16_e32 v27, 0x3aee, v10
	v_pack_b32_f16 v10, v17, v45
	v_pack_b32_f16 v13, v13, v15
	;; [unrolled: 1-line block ×7, first 2 shown]
	ds_store_2addr_b32 v39, v18, v35 offset1:10
	ds_store_b32 v39, v10 offset:80
	ds_store_2addr_b32 v40, v13, v15 offset1:10
	ds_store_b32 v40, v11 offset:80
	;; [unrolled: 2-line block ×3, first 2 shown]
	s_and_saveexec_b32 s1, s0
	s_cbranch_execz .LBB0_23
; %bb.22:
	v_lshlrev_b32_e32 v10, 2, v30
	v_perm_b32 v11, v26, v7, 0x5040100
	v_perm_b32 v12, v31, v8, 0x5040100
	;; [unrolled: 1-line block ×3, first 2 shown]
	s_delay_alu instid0(VALU_DEP_4)
	v_add3_u32 v10, 0, v10, v20
	ds_store_2addr_b32 v10, v11, v12 offset0:240 offset1:250
	ds_store_b32 v10, v13 offset:1040
.LBB0_23:
	s_wait_alu 0xfffe
	s_or_b32 exec_lo, exec_lo, s1
	global_wb scope:SCOPE_SE
	s_wait_dscnt 0x0
	s_barrier_signal -1
	s_barrier_wait -1
	global_inv scope:SCOPE_SE
	ds_load_b32 v30, v21
	ds_load_2addr_b32 v[18:19], v4 offset0:90 offset1:117
	ds_load_2addr_b32 v[14:15], v4 offset0:144 offset1:180
	;; [unrolled: 1-line block ×4, first 2 shown]
	s_and_saveexec_b32 s1, s0
	s_cbranch_execz .LBB0_25
; %bb.24:
	ds_load_2addr_b32 v[7:8], v4 offset0:81 offset1:171
	ds_load_b32 v9, v4 offset:1044
	s_wait_dscnt 0x1
	v_lshrrev_b32_e32 v26, 16, v7
	s_wait_dscnt 0x0
	v_lshrrev_b32_e32 v27, 16, v9
	v_lshrrev_b32_e32 v31, 16, v8
.LBB0_25:
	s_wait_alu 0xfffe
	s_or_b32 exec_lo, exec_lo, s1
	v_dual_mov_b32 v33, 0 :: v_dual_lshlrev_b32 v32, 1, v3
	v_mul_lo_u16 v28, 0x89, v28
	v_add_nc_u32_e32 v34, -3, v3
	v_mul_lo_u16 v29, 0x89, v29
	v_cmp_gt_u32_e64 s1, 3, v3
	v_lshlrev_b64_e32 v[12:13], 2, v[32:33]
	v_lshrrev_b16 v28, 12, v28
	s_wait_dscnt 0x3
	v_lshrrev_b32_e32 v46, 16, v18
	v_lshrrev_b16 v29, 12, v29
	s_wait_alu 0xf1ff
	v_cndmask_b32_e64 v40, v34, v25, s1
	s_wait_dscnt 0x2
	v_lshrrev_b32_e32 v47, 16, v15
	v_add_co_u32 v12, s1, s8, v12
	v_mul_lo_u16 v36, v28, 30
	v_mul_lo_u16 v29, v29, 30
	v_lshlrev_b32_e32 v32, 1, v40
	s_wait_alu 0xf1ff
	v_add_co_ci_u32_e64 v13, s1, s9, v13, s1
	v_sub_nc_u16 v36, v24, v36
	v_sub_nc_u16 v29, v23, v29
	v_lshlrev_b64_e32 v[32:33], 2, v[32:33]
	global_load_b64 v[34:35], v[12:13], off offset:80
	v_lshlrev_b32_e32 v40, 2, v40
	v_and_b32_e32 v41, 0xff, v36
	v_and_b32_e32 v29, 0xff, v29
	;; [unrolled: 1-line block ×3, first 2 shown]
	v_add_co_u32 v32, s1, s8, v32
	s_wait_alu 0xf1ff
	v_add_co_ci_u32_e64 v33, s1, s9, v33, s1
	v_lshlrev_b32_e32 v36, 3, v41
	v_lshlrev_b32_e32 v38, 3, v29
	s_clause 0x2
	global_load_b64 v[32:33], v[32:33], off offset:80
	global_load_b64 v[36:37], v36, s[8:9] offset:80
	global_load_b64 v[38:39], v38, s[8:9] offset:80
	v_cmp_lt_u32_e64 s1, 2, v3
	v_mad_u32_u24 v28, 0x168, v28, 0
	v_lshlrev_b32_e32 v41, 2, v41
	v_lshrrev_b32_e32 v48, 16, v19
	s_wait_dscnt 0x0
	v_lshrrev_b32_e32 v49, 16, v16
	s_wait_alu 0xf1ff
	v_cndmask_b32_e64 v44, 0, 0x168, s1
	v_lshrrev_b32_e32 v42, 16, v30
	v_add3_u32 v41, v28, v41, v20
	v_lshrrev_b32_e32 v50, 16, v14
	v_lshrrev_b32_e32 v51, 16, v17
	v_add_nc_u32_e32 v44, 0, v44
	v_lshrrev_b32_e32 v43, 16, v10
	v_lshrrev_b32_e32 v45, 16, v11
	global_wb scope:SCOPE_SE
	s_wait_loadcnt 0x0
	s_barrier_signal -1
	v_add3_u32 v40, v44, v40, v20
	s_barrier_wait -1
	global_inv scope:SCOPE_SE
	v_lshrrev_b32_e32 v44, 16, v34
	v_lshrrev_b32_e32 v52, 16, v35
	s_delay_alu instid0(VALU_DEP_2) | instskip(SKIP_1) | instid1(VALU_DEP_3)
	v_mul_f16_e32 v53, v44, v46
	v_mul_f16_e32 v44, v44, v18
	;; [unrolled: 1-line block ×4, first 2 shown]
	s_delay_alu instid0(VALU_DEP_4) | instskip(NEXT) | instid1(VALU_DEP_4)
	v_fma_f16 v18, v34, v18, -v53
	v_fmac_f16_e32 v44, v34, v46
	v_lshrrev_b32_e32 v28, 16, v32
	v_lshrrev_b32_e32 v34, 16, v33
	v_fma_f16 v15, v35, v15, -v54
	v_fmac_f16_e32 v52, v35, v47
	v_lshrrev_b32_e32 v35, 16, v36
	v_lshrrev_b32_e32 v46, 16, v37
	v_lshrrev_b32_e32 v47, 16, v38
	v_lshrrev_b32_e32 v53, 16, v39
	v_mul_f16_e32 v54, v28, v48
	v_mul_f16_e32 v28, v28, v19
	;; [unrolled: 1-line block ×4, first 2 shown]
	v_add_f16_e32 v57, v18, v15
	v_sub_f16_e32 v58, v44, v52
	v_add_f16_e32 v59, v42, v44
	v_add_f16_e32 v44, v44, v52
	v_mul_f16_e32 v60, v35, v50
	v_mul_f16_e32 v35, v35, v14
	;; [unrolled: 1-line block ×4, first 2 shown]
	v_add_f16_e32 v56, v30, v18
	v_mul_f16_e32 v62, v31, v47
	v_mul_f16_e32 v47, v8, v47
	;; [unrolled: 1-line block ×4, first 2 shown]
	v_fma_f16 v19, v32, v19, -v54
	v_fmac_f16_e32 v28, v32, v48
	v_fma_f16 v16, v33, v16, -v55
	v_fmac_f16_e32 v34, v33, v49
	v_sub_f16_e32 v18, v18, v15
	v_fmac_f16_e32 v30, -0.5, v57
	v_fmac_f16_e32 v42, -0.5, v44
	v_fma_f16 v14, v36, v14, -v60
	v_fmac_f16_e32 v35, v36, v50
	v_fma_f16 v17, v37, v17, -v61
	v_fmac_f16_e32 v46, v37, v51
	v_add_f16_e32 v15, v56, v15
	v_add_f16_e32 v32, v59, v52
	v_fma_f16 v8, v8, v38, -v62
	v_fmac_f16_e32 v47, v31, v38
	v_fma_f16 v9, v9, v39, -v63
	v_fmac_f16_e32 v53, v27, v39
	v_add_f16_e32 v33, v19, v16
	v_sub_f16_e32 v36, v28, v34
	v_add_f16_e32 v37, v43, v28
	v_add_f16_e32 v28, v28, v34
	v_fmamk_f16 v27, v58, 0x3aee, v30
	v_fmamk_f16 v31, v18, 0xbaee, v42
	v_fmac_f16_e32 v42, 0x3aee, v18
	v_add_f16_e32 v18, v10, v19
	v_add_f16_e32 v38, v14, v17
	v_sub_f16_e32 v39, v35, v46
	v_add_f16_e32 v44, v45, v35
	v_add_f16_e32 v35, v35, v46
	v_fmac_f16_e32 v30, 0xbaee, v58
	v_sub_f16_e32 v19, v19, v16
	v_pack_b32_f16 v15, v15, v32
	v_add_f16_e32 v32, v11, v14
	v_add_f16_e32 v49, v8, v9
	v_sub_f16_e32 v50, v47, v53
	v_add_f16_e32 v51, v26, v47
	v_add_f16_e32 v47, v47, v53
	v_fma_f16 v10, -0.5, v33, v10
	v_fmac_f16_e32 v43, -0.5, v28
	v_sub_f16_e32 v14, v14, v17
	v_add_f16_e32 v16, v18, v16
	v_add_f16_e32 v18, v37, v34
	v_pack_b32_f16 v28, v27, v31
	v_fmac_f16_e32 v11, -0.5, v38
	v_fmac_f16_e32 v45, -0.5, v35
	v_pack_b32_f16 v30, v30, v42
	v_add_f16_e32 v48, v7, v8
	v_sub_f16_e32 v52, v8, v9
	v_add_f16_e32 v17, v32, v17
	v_add_f16_e32 v31, v44, v46
	v_fmac_f16_e32 v7, -0.5, v49
	v_fmac_f16_e32 v26, -0.5, v47
	v_fmamk_f16 v32, v36, 0x3aee, v10
	v_fmamk_f16 v33, v19, 0xbaee, v43
	v_fmac_f16_e32 v10, 0xbaee, v36
	v_fmac_f16_e32 v43, 0x3aee, v19
	ds_store_2addr_b32 v4, v15, v28 offset1:30
	ds_store_b32 v4, v30 offset:240
	v_pack_b32_f16 v15, v16, v18
	v_fmamk_f16 v16, v39, 0x3aee, v11
	v_fmamk_f16 v18, v14, 0xbaee, v45
	v_fmac_f16_e32 v11, 0xbaee, v39
	v_fmac_f16_e32 v45, 0x3aee, v14
	v_add_f16_e32 v8, v48, v9
	v_add_f16_e32 v27, v51, v53
	v_fmamk_f16 v9, v50, 0x3aee, v7
	v_fmac_f16_e32 v7, 0xbaee, v50
	v_fmamk_f16 v28, v52, 0xbaee, v26
	v_pack_b32_f16 v14, v17, v31
	v_pack_b32_f16 v17, v32, v33
	v_fmac_f16_e32 v26, 0x3aee, v52
	v_pack_b32_f16 v10, v10, v43
	v_pack_b32_f16 v16, v16, v18
	;; [unrolled: 1-line block ×3, first 2 shown]
	ds_store_2addr_b32 v40, v15, v17 offset1:30
	ds_store_b32 v40, v10 offset:240
	ds_store_2addr_b32 v41, v14, v16 offset1:30
	ds_store_b32 v41, v11 offset:240
	s_and_saveexec_b32 s1, s0
	s_cbranch_execz .LBB0_27
; %bb.26:
	v_lshlrev_b32_e32 v10, 2, v29
	v_perm_b32 v11, v27, v8, 0x5040100
	v_perm_b32 v14, v28, v9, 0x5040100
	;; [unrolled: 1-line block ×3, first 2 shown]
	s_delay_alu instid0(VALU_DEP_4)
	v_add3_u32 v10, 0, v10, v20
	ds_store_2addr_b32 v10, v11, v14 offset0:180 offset1:210
	ds_store_b32 v10, v15 offset:960
.LBB0_27:
	s_wait_alu 0xfffe
	s_or_b32 exec_lo, exec_lo, s1
	global_wb scope:SCOPE_SE
	s_wait_dscnt 0x0
	s_barrier_signal -1
	s_barrier_wait -1
	global_inv scope:SCOPE_SE
	ds_load_b32 v21, v21
	ds_load_2addr_b32 v[18:19], v4 offset0:90 offset1:117
	ds_load_2addr_b32 v[14:15], v4 offset0:144 offset1:180
	;; [unrolled: 1-line block ×4, first 2 shown]
	s_and_saveexec_b32 s1, s0
	s_cbranch_execz .LBB0_29
; %bb.28:
	ds_load_2addr_b32 v[8:9], v4 offset0:81 offset1:171
	ds_load_b32 v7, v4 offset:1044
	s_wait_dscnt 0x1
	v_lshrrev_b32_e32 v27, 16, v8
	s_wait_dscnt 0x0
	v_lshrrev_b32_e32 v26, 16, v7
	v_lshrrev_b32_e32 v28, 16, v9
.LBB0_29:
	s_wait_alu 0xfffe
	s_or_b32 exec_lo, exec_lo, s1
	global_load_b64 v[29:30], v[12:13], off offset:320
	v_dual_mov_b32 v13, 0 :: v_dual_lshlrev_b32 v12, 1, v25
	v_mul_i32_i24_e32 v35, 0xffffffdc, v3
	s_wait_dscnt 0x3
	v_lshrrev_b32_e32 v40, 16, v18
	s_wait_dscnt 0x2
	v_lshrrev_b32_e32 v42, 16, v15
	;; [unrolled: 2-line block ×3, first 2 shown]
	v_lshlrev_b64_e32 v[31:32], 2, v[12:13]
	v_lshlrev_b32_e32 v12, 1, v24
	v_add3_u32 v20, v22, v35, v20
	v_lshrrev_b32_e32 v39, 16, v19
	v_lshrrev_b32_e32 v37, 16, v14
	;; [unrolled: 1-line block ×3, first 2 shown]
	v_add_co_u32 v24, s1, s8, v31
	s_wait_alu 0xf1ff
	v_add_co_ci_u32_e64 v25, s1, s9, v32, s1
	v_lshlrev_b64_e32 v[31:32], 2, v[12:13]
	v_lshrrev_b32_e32 v12, 16, v21
	v_lshrrev_b32_e32 v33, 16, v10
	global_load_b64 v[24:25], v[24:25], off offset:320
	v_lshrrev_b32_e32 v34, 16, v11
	v_add_co_u32 v31, s1, s8, v31
	s_wait_alu 0xf1ff
	v_add_co_ci_u32_e64 v32, s1, s9, v32, s1
	global_load_b64 v[31:32], v[31:32], off offset:320
	global_wb scope:SCOPE_SE
	s_wait_loadcnt 0x0
	s_barrier_signal -1
	s_barrier_wait -1
	global_inv scope:SCOPE_SE
	v_lshrrev_b32_e32 v41, 16, v29
	v_lshrrev_b32_e32 v43, 16, v30
	s_delay_alu instid0(VALU_DEP_2) | instskip(SKIP_1) | instid1(VALU_DEP_3)
	v_mul_f16_e32 v22, v41, v40
	v_mul_f16_e32 v35, v41, v18
	;; [unrolled: 1-line block ×4, first 2 shown]
	s_delay_alu instid0(VALU_DEP_4) | instskip(NEXT) | instid1(VALU_DEP_4)
	v_fma_f16 v18, v29, v18, -v22
	v_fmac_f16_e32 v35, v29, v40
	s_delay_alu instid0(VALU_DEP_4) | instskip(NEXT) | instid1(VALU_DEP_4)
	v_fma_f16 v15, v30, v15, -v41
	v_fmac_f16_e32 v43, v30, v42
	s_delay_alu instid0(VALU_DEP_4) | instskip(NEXT) | instid1(VALU_DEP_4)
	v_add_f16_e32 v22, v21, v18
	v_add_f16_e32 v40, v12, v35
	s_delay_alu instid0(VALU_DEP_4) | instskip(NEXT) | instid1(VALU_DEP_4)
	v_add_f16_e32 v29, v18, v15
	v_sub_f16_e32 v30, v35, v43
	v_add_f16_e32 v35, v35, v43
	v_lshrrev_b32_e32 v41, 16, v24
	v_lshrrev_b32_e32 v42, 16, v25
	v_sub_f16_e32 v18, v18, v15
	v_add_f16_e32 v15, v22, v15
	v_fmac_f16_e32 v21, -0.5, v29
	v_add_f16_e32 v22, v40, v43
	v_fmac_f16_e32 v12, -0.5, v35
	v_mul_f16_e32 v29, v41, v39
	v_mul_f16_e32 v35, v41, v19
	;; [unrolled: 1-line block ×4, first 2 shown]
	v_lshrrev_b32_e32 v42, 16, v31
	v_lshrrev_b32_e32 v43, 16, v32
	v_fmamk_f16 v44, v30, 0x3aee, v21
	v_fmac_f16_e32 v21, 0xbaee, v30
	v_fmamk_f16 v30, v18, 0xbaee, v12
	v_fmac_f16_e32 v12, 0x3aee, v18
	v_pack_b32_f16 v15, v15, v22
	v_fma_f16 v18, v24, v19, -v29
	v_fmac_f16_e32 v35, v24, v39
	v_fma_f16 v16, v25, v16, -v40
	v_fmac_f16_e32 v41, v25, v38
	v_mul_f16_e32 v19, v42, v37
	v_mul_f16_e32 v22, v42, v14
	;; [unrolled: 1-line block ×4, first 2 shown]
	v_pack_b32_f16 v29, v44, v30
	v_pack_b32_f16 v12, v21, v12
	v_fma_f16 v14, v31, v14, -v19
	v_fmac_f16_e32 v22, v31, v37
	v_add_f16_e32 v19, v10, v18
	v_add_f16_e32 v21, v18, v16
	;; [unrolled: 1-line block ×4, first 2 shown]
	v_fma_f16 v17, v32, v17, -v24
	v_fmac_f16_e32 v25, v32, v36
	v_sub_f16_e32 v24, v35, v41
	v_sub_f16_e32 v18, v18, v16
	ds_store_2addr_b32 v4, v29, v12 offset0:90 offset1:180
	v_add_f16_e32 v12, v19, v16
	v_fma_f16 v10, -0.5, v21, v10
	v_add_f16_e32 v16, v30, v41
	v_fmac_f16_e32 v33, -0.5, v31
	v_add_f16_e32 v19, v11, v14
	v_add_f16_e32 v30, v34, v22
	;; [unrolled: 1-line block ×3, first 2 shown]
	v_sub_f16_e32 v29, v22, v25
	v_add_f16_e32 v22, v22, v25
	v_sub_f16_e32 v14, v14, v17
	v_fmamk_f16 v31, v24, 0x3aee, v10
	v_fmac_f16_e32 v10, 0xbaee, v24
	v_fmamk_f16 v24, v18, 0xbaee, v33
	v_fmac_f16_e32 v33, 0x3aee, v18
	v_add_f16_e32 v17, v19, v17
	v_add_f16_e32 v18, v30, v25
	v_pack_b32_f16 v12, v12, v16
	v_fmac_f16_e32 v11, -0.5, v21
	v_fmac_f16_e32 v34, -0.5, v22
	ds_store_2addr_b32 v4, v15, v12 offset1:27
	v_pack_b32_f16 v12, v17, v18
	v_fmamk_f16 v16, v29, 0x3aee, v11
	v_fmac_f16_e32 v11, 0xbaee, v29
	v_fmamk_f16 v19, v14, 0xbaee, v34
	v_fmac_f16_e32 v34, 0x3aee, v14
	ds_store_b16 v20, v31 offset:468
	ds_store_b16 v20, v24 offset:470
	;; [unrolled: 1-line block ×4, first 2 shown]
	ds_store_b32 v4, v12 offset:216
	ds_store_b16 v20, v16 offset:576
	ds_store_b16 v20, v19 offset:578
	;; [unrolled: 1-line block ×4, first 2 shown]
	s_and_saveexec_b32 s1, s0
	s_cbranch_execz .LBB0_31
; %bb.30:
	v_add_nc_u32_e32 v10, -9, v3
	s_delay_alu instid0(VALU_DEP_1) | instskip(NEXT) | instid1(VALU_DEP_1)
	v_cndmask_b32_e64 v10, v10, v23, s0
	v_lshlrev_b32_e32 v12, 1, v10
	s_delay_alu instid0(VALU_DEP_1) | instskip(NEXT) | instid1(VALU_DEP_1)
	v_lshlrev_b64_e32 v[10:11], 2, v[12:13]
	v_add_co_u32 v10, s0, s8, v10
	s_wait_alu 0xf1ff
	s_delay_alu instid0(VALU_DEP_2) | instskip(SKIP_4) | instid1(VALU_DEP_2)
	v_add_co_ci_u32_e64 v11, s0, s9, v11, s0
	global_load_b64 v[10:11], v[10:11], off offset:320
	s_wait_loadcnt 0x0
	v_lshrrev_b32_e32 v12, 16, v10
	v_lshrrev_b32_e32 v13, 16, v11
	v_mul_f16_e32 v14, v28, v12
	v_mul_f16_e32 v12, v9, v12
	s_delay_alu instid0(VALU_DEP_3) | instskip(SKIP_1) | instid1(VALU_DEP_4)
	v_mul_f16_e32 v15, v7, v13
	v_mul_f16_e32 v13, v26, v13
	v_fma_f16 v9, v9, v10, -v14
	s_delay_alu instid0(VALU_DEP_4) | instskip(NEXT) | instid1(VALU_DEP_4)
	v_fmac_f16_e32 v12, v28, v10
	v_fmac_f16_e32 v15, v26, v11
	s_delay_alu instid0(VALU_DEP_4) | instskip(NEXT) | instid1(VALU_DEP_3)
	v_fma_f16 v7, v7, v11, -v13
	v_add_f16_e32 v14, v27, v12
	s_delay_alu instid0(VALU_DEP_3) | instskip(NEXT) | instid1(VALU_DEP_3)
	v_add_f16_e32 v10, v12, v15
	v_add_f16_e32 v13, v9, v7
	v_sub_f16_e32 v11, v9, v7
	v_add_f16_e32 v9, v8, v9
	v_sub_f16_e32 v12, v12, v15
	v_fma_f16 v10, -0.5, v10, v27
	v_fma_f16 v8, -0.5, v13, v8
	v_add_f16_e32 v13, v14, v15
	v_add_f16_e32 v7, v9, v7
	s_delay_alu instid0(VALU_DEP_4) | instskip(SKIP_4) | instid1(VALU_DEP_3)
	v_fmamk_f16 v9, v11, 0x3aee, v10
	v_fmac_f16_e32 v10, 0xbaee, v11
	v_fmamk_f16 v11, v12, 0xbaee, v8
	v_fmac_f16_e32 v8, 0x3aee, v12
	v_pack_b32_f16 v7, v7, v13
	v_pack_b32_f16 v9, v11, v9
	s_delay_alu instid0(VALU_DEP_3)
	v_pack_b32_f16 v8, v8, v10
	ds_store_2addr_b32 v4, v7, v8 offset0:81 offset1:171
	ds_store_b32 v4, v9 offset:1044
.LBB0_31:
	s_wait_alu 0xfffe
	s_or_b32 exec_lo, exec_lo, s1
	global_wb scope:SCOPE_SE
	s_wait_dscnt 0x0
	s_barrier_signal -1
	s_barrier_wait -1
	global_inv scope:SCOPE_SE
	s_and_saveexec_b32 s0, vcc_lo
	s_cbranch_execz .LBB0_33
; %bb.32:
	v_mul_lo_u32 v7, s3, v5
	v_mul_lo_u32 v8, s2, v6
	v_mad_co_u64_u32 v[5:6], null, s2, v5, 0
	v_mov_b32_e32 v4, 0
	v_lshl_add_u32 v29, v3, 2, v0
	v_lshlrev_b64_e32 v[0:1], 2, v[1:2]
	v_add_nc_u32_e32 v21, 0xa2, v3
	v_add_nc_u32_e32 v23, 0xbd, v3
	;; [unrolled: 1-line block ×3, first 2 shown]
	v_add3_u32 v6, v6, v8, v7
	v_add_nc_u32_e32 v7, 27, v3
	v_dual_mov_b32 v8, v4 :: v_dual_add_nc_u32 v9, 54, v3
	v_lshlrev_b64_e32 v[15:16], 2, v[3:4]
	s_delay_alu instid0(VALU_DEP_4)
	v_lshlrev_b64_e32 v[5:6], 2, v[5:6]
	v_dual_mov_b32 v10, v4 :: v_dual_add_nc_u32 v11, 0x51, v3
	v_mov_b32_e32 v12, v4
	v_mov_b32_e32 v20, v4
	;; [unrolled: 1-line block ×3, first 2 shown]
	v_add_co_u32 v2, vcc_lo, s6, v5
	s_wait_alu 0xfffd
	v_add_co_ci_u32_e32 v5, vcc_lo, s7, v6, vcc_lo
	ds_load_2addr_b32 v[13:14], v29 offset1:27
	v_add_co_u32 v31, vcc_lo, v2, v0
	s_wait_alu 0xfffd
	v_add_co_ci_u32_e32 v32, vcc_lo, v5, v1, vcc_lo
	v_lshlrev_b64_e32 v[0:1], 2, v[7:8]
	s_delay_alu instid0(VALU_DEP_3)
	v_add_co_u32 v5, vcc_lo, v31, v15
	v_lshlrev_b64_e32 v[7:8], 2, v[9:10]
	s_wait_alu 0xfffd
	v_add_co_ci_u32_e32 v6, vcc_lo, v32, v16, vcc_lo
	v_dual_mov_b32 v16, v4 :: v_dual_add_nc_u32 v15, 0x6c, v3
	v_add_nc_u32_e32 v19, 0x87, v3
	v_add_co_u32 v0, vcc_lo, v31, v0
	v_lshlrev_b64_e32 v[11:12], 2, v[11:12]
	s_wait_alu 0xfffd
	v_add_co_ci_u32_e32 v1, vcc_lo, v32, v1, vcc_lo
	v_add_co_u32 v7, vcc_lo, v31, v7
	v_lshlrev_b64_e32 v[15:16], 2, v[15:16]
	s_wait_alu 0xfffd
	v_add_co_ci_u32_e32 v8, vcc_lo, v32, v8, vcc_lo
	v_add_co_u32 v11, vcc_lo, v31, v11
	v_lshlrev_b64_e32 v[19:20], 2, v[19:20]
	v_mov_b32_e32 v24, v4
	ds_load_2addr_b32 v[9:10], v29 offset0:54 offset1:81
	s_wait_alu 0xfffd
	v_add_co_ci_u32_e32 v12, vcc_lo, v32, v12, vcc_lo
	v_add_co_u32 v15, vcc_lo, v31, v15
	v_lshlrev_b64_e32 v[21:22], 2, v[21:22]
	ds_load_2addr_b32 v[17:18], v29 offset0:108 offset1:135
	v_dual_mov_b32 v28, v4 :: v_dual_add_nc_u32 v3, 0xf3, v3
	s_wait_alu 0xfffd
	v_add_co_ci_u32_e32 v16, vcc_lo, v32, v16, vcc_lo
	v_add_co_u32 v19, vcc_lo, v31, v19
	ds_load_2addr_b32 v[25:26], v29 offset0:162 offset1:189
	v_lshlrev_b64_e32 v[23:24], 2, v[23:24]
	s_wait_alu 0xfffd
	v_add_co_ci_u32_e32 v20, vcc_lo, v32, v20, vcc_lo
	ds_load_2addr_b32 v[29:30], v29 offset0:216 offset1:243
	v_add_co_u32 v21, vcc_lo, v31, v21
	v_lshlrev_b64_e32 v[27:28], 2, v[27:28]
	s_wait_alu 0xfffd
	v_add_co_ci_u32_e32 v22, vcc_lo, v32, v22, vcc_lo
	v_add_co_u32 v23, vcc_lo, v31, v23
	v_lshlrev_b64_e32 v[2:3], 2, v[3:4]
	s_wait_alu 0xfffd
	v_add_co_ci_u32_e32 v24, vcc_lo, v32, v24, vcc_lo
	v_add_co_u32 v27, vcc_lo, v31, v27
	s_wait_alu 0xfffd
	v_add_co_ci_u32_e32 v28, vcc_lo, v32, v28, vcc_lo
	v_add_co_u32 v2, vcc_lo, v31, v2
	s_wait_alu 0xfffd
	v_add_co_ci_u32_e32 v3, vcc_lo, v32, v3, vcc_lo
	s_wait_dscnt 0x4
	s_clause 0x1
	global_store_b32 v[5:6], v13, off
	global_store_b32 v[0:1], v14, off
	s_wait_dscnt 0x3
	s_clause 0x1
	global_store_b32 v[7:8], v9, off
	global_store_b32 v[11:12], v10, off
	;; [unrolled: 4-line block ×5, first 2 shown]
.LBB0_33:
	s_nop 0
	s_sendmsg sendmsg(MSG_DEALLOC_VGPRS)
	s_endpgm
	.section	.rodata,"a",@progbits
	.p2align	6, 0x0
	.amdhsa_kernel fft_rtc_fwd_len270_factors_10_3_3_3_wgs_108_tpt_27_halfLds_half_op_CI_CI_unitstride_sbrr_C2R_dirReg
		.amdhsa_group_segment_fixed_size 0
		.amdhsa_private_segment_fixed_size 0
		.amdhsa_kernarg_size 104
		.amdhsa_user_sgpr_count 2
		.amdhsa_user_sgpr_dispatch_ptr 0
		.amdhsa_user_sgpr_queue_ptr 0
		.amdhsa_user_sgpr_kernarg_segment_ptr 1
		.amdhsa_user_sgpr_dispatch_id 0
		.amdhsa_user_sgpr_private_segment_size 0
		.amdhsa_wavefront_size32 1
		.amdhsa_uses_dynamic_stack 0
		.amdhsa_enable_private_segment 0
		.amdhsa_system_sgpr_workgroup_id_x 1
		.amdhsa_system_sgpr_workgroup_id_y 0
		.amdhsa_system_sgpr_workgroup_id_z 0
		.amdhsa_system_sgpr_workgroup_info 0
		.amdhsa_system_vgpr_workitem_id 0
		.amdhsa_next_free_vgpr 64
		.amdhsa_next_free_sgpr 39
		.amdhsa_reserve_vcc 1
		.amdhsa_float_round_mode_32 0
		.amdhsa_float_round_mode_16_64 0
		.amdhsa_float_denorm_mode_32 3
		.amdhsa_float_denorm_mode_16_64 3
		.amdhsa_fp16_overflow 0
		.amdhsa_workgroup_processor_mode 1
		.amdhsa_memory_ordered 1
		.amdhsa_forward_progress 0
		.amdhsa_round_robin_scheduling 0
		.amdhsa_exception_fp_ieee_invalid_op 0
		.amdhsa_exception_fp_denorm_src 0
		.amdhsa_exception_fp_ieee_div_zero 0
		.amdhsa_exception_fp_ieee_overflow 0
		.amdhsa_exception_fp_ieee_underflow 0
		.amdhsa_exception_fp_ieee_inexact 0
		.amdhsa_exception_int_div_zero 0
	.end_amdhsa_kernel
	.text
.Lfunc_end0:
	.size	fft_rtc_fwd_len270_factors_10_3_3_3_wgs_108_tpt_27_halfLds_half_op_CI_CI_unitstride_sbrr_C2R_dirReg, .Lfunc_end0-fft_rtc_fwd_len270_factors_10_3_3_3_wgs_108_tpt_27_halfLds_half_op_CI_CI_unitstride_sbrr_C2R_dirReg
                                        ; -- End function
	.section	.AMDGPU.csdata,"",@progbits
; Kernel info:
; codeLenInByte = 8340
; NumSgprs: 41
; NumVgprs: 64
; ScratchSize: 0
; MemoryBound: 0
; FloatMode: 240
; IeeeMode: 1
; LDSByteSize: 0 bytes/workgroup (compile time only)
; SGPRBlocks: 5
; VGPRBlocks: 7
; NumSGPRsForWavesPerEU: 41
; NumVGPRsForWavesPerEU: 64
; Occupancy: 16
; WaveLimiterHint : 1
; COMPUTE_PGM_RSRC2:SCRATCH_EN: 0
; COMPUTE_PGM_RSRC2:USER_SGPR: 2
; COMPUTE_PGM_RSRC2:TRAP_HANDLER: 0
; COMPUTE_PGM_RSRC2:TGID_X_EN: 1
; COMPUTE_PGM_RSRC2:TGID_Y_EN: 0
; COMPUTE_PGM_RSRC2:TGID_Z_EN: 0
; COMPUTE_PGM_RSRC2:TIDIG_COMP_CNT: 0
	.text
	.p2alignl 7, 3214868480
	.fill 96, 4, 3214868480
	.type	__hip_cuid_8762b355414ac2fd,@object ; @__hip_cuid_8762b355414ac2fd
	.section	.bss,"aw",@nobits
	.globl	__hip_cuid_8762b355414ac2fd
__hip_cuid_8762b355414ac2fd:
	.byte	0                               ; 0x0
	.size	__hip_cuid_8762b355414ac2fd, 1

	.ident	"AMD clang version 19.0.0git (https://github.com/RadeonOpenCompute/llvm-project roc-6.4.0 25133 c7fe45cf4b819c5991fe208aaa96edf142730f1d)"
	.section	".note.GNU-stack","",@progbits
	.addrsig
	.addrsig_sym __hip_cuid_8762b355414ac2fd
	.amdgpu_metadata
---
amdhsa.kernels:
  - .args:
      - .actual_access:  read_only
        .address_space:  global
        .offset:         0
        .size:           8
        .value_kind:     global_buffer
      - .offset:         8
        .size:           8
        .value_kind:     by_value
      - .actual_access:  read_only
        .address_space:  global
        .offset:         16
        .size:           8
        .value_kind:     global_buffer
      - .actual_access:  read_only
        .address_space:  global
        .offset:         24
        .size:           8
        .value_kind:     global_buffer
      - .actual_access:  read_only
        .address_space:  global
        .offset:         32
        .size:           8
        .value_kind:     global_buffer
      - .offset:         40
        .size:           8
        .value_kind:     by_value
      - .actual_access:  read_only
        .address_space:  global
        .offset:         48
        .size:           8
        .value_kind:     global_buffer
      - .actual_access:  read_only
        .address_space:  global
        .offset:         56
        .size:           8
        .value_kind:     global_buffer
      - .offset:         64
        .size:           4
        .value_kind:     by_value
      - .actual_access:  read_only
        .address_space:  global
        .offset:         72
        .size:           8
        .value_kind:     global_buffer
      - .actual_access:  read_only
        .address_space:  global
        .offset:         80
        .size:           8
        .value_kind:     global_buffer
      - .actual_access:  read_only
        .address_space:  global
        .offset:         88
        .size:           8
        .value_kind:     global_buffer
      - .actual_access:  write_only
        .address_space:  global
        .offset:         96
        .size:           8
        .value_kind:     global_buffer
    .group_segment_fixed_size: 0
    .kernarg_segment_align: 8
    .kernarg_segment_size: 104
    .language:       OpenCL C
    .language_version:
      - 2
      - 0
    .max_flat_workgroup_size: 108
    .name:           fft_rtc_fwd_len270_factors_10_3_3_3_wgs_108_tpt_27_halfLds_half_op_CI_CI_unitstride_sbrr_C2R_dirReg
    .private_segment_fixed_size: 0
    .sgpr_count:     41
    .sgpr_spill_count: 0
    .symbol:         fft_rtc_fwd_len270_factors_10_3_3_3_wgs_108_tpt_27_halfLds_half_op_CI_CI_unitstride_sbrr_C2R_dirReg.kd
    .uniform_work_group_size: 1
    .uses_dynamic_stack: false
    .vgpr_count:     64
    .vgpr_spill_count: 0
    .wavefront_size: 32
    .workgroup_processor_mode: 1
amdhsa.target:   amdgcn-amd-amdhsa--gfx1201
amdhsa.version:
  - 1
  - 2
...

	.end_amdgpu_metadata
